;; amdgpu-corpus repo=ROCm/aiter kind=harvested arch=n/a opt=n/a

/root/src/amdgpu-assembly/repos/ROCm__aiter/hsa/gfx942/fmha_v3_bwd/bwd_hd64_dq_convert_bf16_rtna.co:	file format elf64-amdgpu

Disassembly of section .text:

0000000000002100 <_ZN5aiter34fmha_bwd_hd64_dq_convert_bf16_rtnaE>:
	s_and_b32 s1, s1, 0xffff                                   // 000000002100: 8601FF01 0000FFFF
	s_load_dwordx2 s[12:13], s[0:1], 0x0                       // 000000002108: C0060300 00000000
	s_load_dwordx2 s[16:17], s[0:1], 0x10                      // 000000002110: C0060400 00000010
	s_load_dword s6, s[0:1], 0x20                              // 000000002118: C0020180 00000020
	s_load_dword s8, s[0:1], 0x40                              // 000000002120: C0020200 00000040
	s_load_dword s9, s[0:1], 0x50                              // 000000002128: C0020240 00000050
	s_load_dword s11, s[0:1], 0x70                             // 000000002130: C00202C0 00000070
	s_load_dword s34, s[0:1], 0x90                             // 000000002138: C0020880 00000090
	s_load_dword s7, s[0:1], 0x30                              // 000000002140: C00201C0 00000030
	s_load_dword s10, s[0:1], 0x60                             // 000000002148: C0020280 00000060
	s_load_dword s35, s[0:1], 0x80                             // 000000002150: C00208C0 00000080
	v_lshrrev_b32_e32 v1, 10, v0                               // 000000002158: 2002008A
	v_lshrrev_b32_e32 v2, 10, v1                               // 00000000215C: 2004028A
	v_and_b32_e32 v2, 0x3ff, v2                                // 000000002160: 260404FF 000003FF
	v_and_b32_e32 v1, 0x3ff, v1                                // 000000002168: 260202FF 000003FF
	v_and_b32_e32 v0, 0x3ff, v0                                // 000000002170: 260000FF 000003FF
	v_lshrrev_b32_e32 v3, 6, v0                                // 000000002178: 20060086
	v_and_b32_e32 v0, 63, v0                                   // 00000000217C: 260000BF
	s_mov_b32 s2, s2                                           // 000000002180: BE820002
	s_mov_b32 s3, s3                                           // 000000002184: BE830003
	s_mov_b32 s4, s4                                           // 000000002188: BE840004
	v_readfirstlane_b32 s24, v3                                // 00000000218C: 7E300503
	s_waitcnt lgkmcnt(0)                                       // 000000002190: BF8CC07F
	s_mov_b32 s15, 0x20000                                     // 000000002194: BE8F00FF 00020000
	s_mov_b32 s19, 0x20000                                     // 00000000219C: BE9300FF 00020000
	s_and_b32 s13, s13, 0xffff                                 // 0000000021A4: 860DFF0D 0000FFFF
	s_and_b32 s17, s17, 0xffff                                 // 0000000021AC: 8611FF11 0000FFFF
	s_or_b32 s13, s13, 0x40000                                 // 0000000021B4: 870DFF0D 00040000
	s_or_b32 s17, s17, 0x40000                                 // 0000000021BC: 8711FF11 00040000
	v_mov_b32_e32 v21, 0                                       // 0000000021C4: 7E2A0280
	s_mov_b32 s20, s12                                         // 0000000021C8: BE94000C
	s_mov_b32 s21, s13                                         // 0000000021CC: BE95000D
	s_mov_b32 s22, s16                                         // 0000000021D0: BE960010
	s_mov_b32 s23, s17                                         // 0000000021D4: BE970011
	s_mov_b32 s38, 0x7060302                                   // 0000000021D8: BEA600FF 07060302
	s_mul_i32 s25, s8, 64                                      // 0000000021E0: 9219C008
	s_mul_i32 s25, s2, s25                                     // 0000000021E4: 92191902
	s_mul_i32 s26, s35, s8                                     // 0000000021E8: 921A0823
	s_sub_i32 s26, s26, s25                                    // 0000000021EC: 819A191A
	s_mov_b32 s14, s26                                         // 0000000021F0: BE8E001A
	s_add_u32 s12, s25, s20                                    // 0000000021F4: 800C1419
	s_addc_u32 s13, 0, s21                                     // 0000000021F8: 820D1580
	s_mul_i32 s25, s3, s6                                      // 0000000021FC: 92190603
	s_mul_hi_u32 s26, s3, s6                                   // 000000002200: 961A0603
	s_and_b32 s26, s26, 0xffff                                 // 000000002204: 861AFF1A 0000FFFF
	s_add_u32 s12, s12, s25                                    // 00000000220C: 800C190C
	s_addc_u32 s13, s13, s26                                   // 000000002210: 820D1A0D
	s_mul_i32 s25, s4, s7                                      // 000000002214: 92190704
	s_mul_hi_u32 s26, s4, s7                                   // 000000002218: 961A0704
	s_and_b32 s26, s26, 0xffff                                 // 00000000221C: 861AFF1A 0000FFFF
	s_add_u32 s12, s12, s25                                    // 000000002224: 800C190C
	s_addc_u32 s13, s13, s26                                   // 000000002228: 820D1A0D
	s_mul_i32 s25, s11, 64                                     // 00000000222C: 9219C00B
	s_mul_i32 s25, s2, s25                                     // 000000002230: 92191902
	s_mul_i32 s26, s35, s11                                    // 000000002234: 921A0B23
	s_sub_i32 s26, s26, s25                                    // 000000002238: 819A191A
	s_mov_b32 s18, s26                                         // 00000000223C: BE92001A
	s_add_u32 s16, s25, s22                                    // 000000002240: 80101619
	s_addc_u32 s17, 0, s23                                     // 000000002244: 82111780
	s_mul_i32 s25, s3, s9                                      // 000000002248: 92190903
	s_mul_hi_u32 s26, s3, s9                                   // 00000000224C: 961A0903
	s_and_b32 s26, s26, 0xffff                                 // 000000002250: 861AFF1A 0000FFFF
	s_add_u32 s16, s16, s25                                    // 000000002258: 80101910
	s_addc_u32 s17, s17, s26                                   // 00000000225C: 82111A11
	s_mul_i32 s25, s4, s10                                     // 000000002260: 92190A04
	s_mul_hi_u32 s26, s4, s10                                  // 000000002264: 961A0A04
	s_and_b32 s26, s26, 0xffff                                 // 000000002268: 861AFF1A 0000FFFF
	s_add_u32 s16, s16, s25                                    // 000000002270: 80101910
	s_addc_u32 s17, s17, s26                                   // 000000002274: 82111A11
	v_readfirstlane_b32 s24, v3                                // 000000002278: 7E300503
	v_lshrrev_b32_e32 v14, 4, v0                               // 00000000227C: 201C0084
	v_mul_i32_i24_e32 v14, s8, v14                             // 000000002280: 0C1C1C08
	v_and_b32_e32 v15, 15, v0                                  // 000000002284: 261E008F
	v_mul_i32_i24_e32 v15, 16, v15                             // 000000002288: 0C1E1E90
	v_add_u32_e32 v15, v14, v15                                // 00000000228C: 681E1F0E
	v_mov_b32_e32 v4, v15                                      // 000000002290: 7E08030F
	s_mul_i32 s25, 16, s8                                      // 000000002294: 92190890
	s_mul_i32 s25, s24, s25                                    // 000000002298: 92191918
	v_add_u32_e32 v4, s25, v4                                  // 00000000229C: 68080819
	v_mov_b32_e32 v6, 0                                        // 0000000022A0: 7E0C0280
	v_lshrrev_b32_e32 v14, 5, v0                               // 0000000022A4: 201C0085
	v_lshlrev_b32_e32 v14, 1, v14                              // 0000000022A8: 241C1C81
	v_mul_i32_i24_e32 v14, s11, v14                            // 0000000022AC: 0C1C1C0B
	v_and_b32_e32 v15, 15, v0                                  // 0000000022B0: 261E008F
	v_lshlrev_b32_e32 v15, 3, v15                              // 0000000022B4: 241E1E83
	v_and_b32_e32 v16, 31, v0                                  // 0000000022B8: 2620009F
	v_lshrrev_b32_e32 v16, 4, v16                              // 0000000022BC: 20202084
	v_lshlrev_b32_e32 v16, 2, v16                              // 0000000022C0: 24202082
	v_add_u32_e32 v6, v14, v6                                  // 0000000022C4: 680C0D0E
	v_add_u32_e32 v6, v15, v6                                  // 0000000022C8: 680C0D0F
	v_add_u32_e32 v6, v16, v6                                  // 0000000022CC: 680C0D10
	s_mul_i32 s25, 16, s11                                     // 0000000022D0: 92190B90
	s_mul_i32 s25, s24, s25                                    // 0000000022D4: 92191918
	v_add_u32_e32 v6, s25, v6                                  // 0000000022D8: 680C0C19
	v_and_b32_e32 v14, 15, v0                                  // 0000000022DC: 261C008F
	v_lshlrev_b32_e32 v14, 2, v14                              // 0000000022E0: 241C1C82
	s_sub_i32 s25, s34, 0                                      // 0000000022E4: 81998022
	v_cmp_lt_u32_e64 s[30:31], v14, s25                        // 0000000022E8: D0C9001E 0000330E
	v_and_b32_e32 v14, 15, v0                                  // 0000000022F0: 261C008F
	v_lshrrev_b32_e32 v14, 1, v14                              // 0000000022F4: 201C1C81
	v_lshlrev_b32_e32 v14, 3, v14                              // 0000000022F8: 241C1C83
	s_sub_i32 s25, s34, 0                                      // 0000000022FC: 81998022
	v_cmp_lt_u32_e64 s[32:33], v14, s25                        // 000000002300: D0C90020 0000330E
	v_mov_b32_e32 v18, 0xffff0000                              // 000000002308: 7E2402FF FFFF0000
	v_mov_b32_e32 v19, 0x7fff0000                              // 000000002310: 7E2602FF 7FFF0000
	v_mov_b32_e32 v20, 0x7fff                                  // 000000002318: 7E2802FF 00007FFF
	s_mul_i32 s25, s8, 0                                       // 000000002320: 92198008
	s_lshl_b32 s25, s25, 2                                     // 000000002324: 8E198219
	v_add_u32_e32 v5, s25, v4                                  // 000000002328: 680A0819
	v_mov_b32_e32 v8, 0                                        // 00000000232C: 7E100280
	v_mov_b32_e32 v9, 0                                        // 000000002330: 7E120280
	v_mov_b32_e32 v10, 0                                       // 000000002334: 7E140280
	v_mov_b32_e32 v11, 0                                       // 000000002338: 7E160280
	s_mov_b64 exec, s[30:31]                                   // 00000000233C: BEFE011E
	buffer_load_dwordx4 v[8:11], v5, s[12:15], 0 offen         // 000000002340: E05C1000 80030805
	s_mov_b64 exec, -1                                         // 000000002348: BEFE01C1
	v_add_u32_e32 v5, 0x100, v5                                // 00000000234C: 680A0AFF 00000100
	s_waitcnt vmcnt(0) expcnt(0) lgkmcnt(0)                    // 000000002354: BF8C0000
	s_barrier                                                  // 000000002358: BF8A0000
	v_cmp_u_f32_e64 s[36:37], v8, v8                           // 00000000235C: D0480024 00021108
	v_add3_u32 v17, v8, v20, 1                                 // 000000002364: D1FF0011 02062908
	v_cndmask_b32_e64 v14, v17, v19, s[36:37]                  // 00000000236C: D100000E 00922711
	v_cmp_u_f32_e64 s[36:37], v9, v9                           // 000000002374: D0480024 00021309
	v_add3_u32 v17, v9, v20, 1                                 // 00000000237C: D1FF0011 02062909
	v_cndmask_b32_e64 v15, v17, v19, s[36:37]                  // 000000002384: D100000F 00922711
	v_perm_b32 v12, v15, v14, s38                              // 00000000238C: D1ED000C 009A1D0F
	v_cmp_u_f32_e64 s[36:37], v10, v10                         // 000000002394: D0480024 0002150A
	v_add3_u32 v17, v10, v20, 1                                // 00000000239C: D1FF0011 0206290A
	v_cndmask_b32_e64 v14, v17, v19, s[36:37]                  // 0000000023A4: D100000E 00922711
	v_cmp_u_f32_e64 s[36:37], v11, v11                         // 0000000023AC: D0480024 0002170B
	v_add3_u32 v17, v11, v20, 1                                // 0000000023B4: D1FF0011 0206290B
	v_cndmask_b32_e64 v15, v17, v19, s[36:37]                  // 0000000023BC: D100000F 00922711
	v_perm_b32 v13, v15, v14, s38                              // 0000000023C4: D1ED000D 009A1D0F
	s_nop 1                                                    // 0000000023CC: BF800001
	s_mul_i32 s25, s24, 0x100                                  // 0000000023D0: 9219FF18 00000100
	s_lshl_b32 s25, s25, 2                                     // 0000000023D8: 8E198219
	v_mov_b32_e32 v14, v0                                      // 0000000023DC: 7E1C0300
	v_lshlrev_b32_e32 v14, 2, v14                              // 0000000023E0: 241C1C82
	v_add_u32_e64 v14, v14, s25                                // 0000000023E4: D134000E 0000330E
	v_add_u32_e32 v15, 0x100, v14                              // 0000000023EC: 681E1CFF 00000100
	ds_write_b32 v14, v12                                      // 0000000023F4: D81A0000 00000C0E
	ds_write_b32 v15, v13                                      // 0000000023FC: D81A0000 00000D0F
	s_barrier                                                  // 000000002404: BF8A0000
	v_lshrrev_b32_e32 v14, 4, v0                               // 000000002408: 201C0084
	v_and_b32_e64 v15, v14, 1                                  // 00000000240C: D113000F 0001030E
	v_lshrrev_b32_e32 v16, 1, v14                              // 000000002414: 20201C81
	v_lshlrev_b32_e32 v14, 1, v15                              // 000000002418: 241C1E81
	v_add_u32_e32 v14, v14, v16                                // 00000000241C: 681C210E
	v_lshlrev_b32_e32 v14, 7, v14                              // 000000002420: 241C1C87
	v_and_b32_e64 v15, v0, 15                                  // 000000002424: D113000F 00011F00
	v_lshlrev_b32_e32 v15, 2, v15                              // 00000000242C: 241E1E82
	v_add_u32_e32 v14, v15, v14                                // 000000002430: 681C1D0F
	v_add_u32_e64 v14, v14, s25                                // 000000002434: D134000E 0000330E
	v_add_u32_e32 v15, 64, v14                                 // 00000000243C: 681E1CC0
	ds_read_b32 v12, v14                                       // 000000002440: D86C0000 0C00000E
	ds_read_b32 v13, v15                                       // 000000002448: D86C0000 0D00000F
	s_barrier                                                  // 000000002450: BF8A0000
	s_nop 1                                                    // 000000002454: BF800001
	s_mul_i32 s25, s11, 0                                      // 000000002458: 9219800B
	s_lshl_b32 s25, s25, 2                                     // 00000000245C: 8E198219
	s_lshl_b32 s26, 0, 7                                       // 000000002460: 8E1A8780
	v_add_u32_e32 v7, s25, v6                                  // 000000002464: 680E0C19
	v_add_u32_e32 v7, s26, v7                                  // 000000002468: 680E0E1A
	s_mov_b64 exec, s[32:33]                                   // 00000000246C: BEFE0120
	buffer_store_dword v12, v7, s[16:19], 0 offen              // 000000002470: E0701000 80040C07
	v_add_u32_e32 v7, s11, v7                                  // 000000002478: 680E0E0B
	buffer_store_dword v13, v7, s[16:19], 0 offen              // 00000000247C: E0701000 80040D07
	s_mov_b64 exec, -1                                         // 000000002484: BEFE01C1
	s_mul_i32 s25, s8, 1                                       // 000000002488: 92198108
	s_lshl_b32 s25, s25, 2                                     // 00000000248C: 8E198219
	v_add_u32_e32 v5, s25, v4                                  // 000000002490: 680A0819
	v_mov_b32_e32 v8, 0                                        // 000000002494: 7E100280
	v_mov_b32_e32 v9, 0                                        // 000000002498: 7E120280
	v_mov_b32_e32 v10, 0                                       // 00000000249C: 7E140280
	v_mov_b32_e32 v11, 0                                       // 0000000024A0: 7E160280
	s_mov_b64 exec, s[30:31]                                   // 0000000024A4: BEFE011E
	buffer_load_dwordx4 v[8:11], v5, s[12:15], 0 offen         // 0000000024A8: E05C1000 80030805
	s_mov_b64 exec, -1                                         // 0000000024B0: BEFE01C1
	v_add_u32_e32 v5, 0x100, v5                                // 0000000024B4: 680A0AFF 00000100
	s_waitcnt vmcnt(0) expcnt(0) lgkmcnt(0)                    // 0000000024BC: BF8C0000
	s_barrier                                                  // 0000000024C0: BF8A0000
	v_cmp_u_f32_e64 s[36:37], v8, v8                           // 0000000024C4: D0480024 00021108
	v_add3_u32 v17, v8, v20, 1                                 // 0000000024CC: D1FF0011 02062908
	v_cndmask_b32_e64 v14, v17, v19, s[36:37]                  // 0000000024D4: D100000E 00922711
	v_cmp_u_f32_e64 s[36:37], v9, v9                           // 0000000024DC: D0480024 00021309
	v_add3_u32 v17, v9, v20, 1                                 // 0000000024E4: D1FF0011 02062909
	v_cndmask_b32_e64 v15, v17, v19, s[36:37]                  // 0000000024EC: D100000F 00922711
	v_perm_b32 v12, v15, v14, s38                              // 0000000024F4: D1ED000C 009A1D0F
	v_cmp_u_f32_e64 s[36:37], v10, v10                         // 0000000024FC: D0480024 0002150A
	v_add3_u32 v17, v10, v20, 1                                // 000000002504: D1FF0011 0206290A
	v_cndmask_b32_e64 v14, v17, v19, s[36:37]                  // 00000000250C: D100000E 00922711
	v_cmp_u_f32_e64 s[36:37], v11, v11                         // 000000002514: D0480024 0002170B
	v_add3_u32 v17, v11, v20, 1                                // 00000000251C: D1FF0011 0206290B
	v_cndmask_b32_e64 v15, v17, v19, s[36:37]                  // 000000002524: D100000F 00922711
	v_perm_b32 v13, v15, v14, s38                              // 00000000252C: D1ED000D 009A1D0F
	s_nop 1                                                    // 000000002534: BF800001
	s_mul_i32 s25, s24, 0x100                                  // 000000002538: 9219FF18 00000100
	s_lshl_b32 s25, s25, 2                                     // 000000002540: 8E198219
	v_mov_b32_e32 v14, v0                                      // 000000002544: 7E1C0300
	v_lshlrev_b32_e32 v14, 2, v14                              // 000000002548: 241C1C82
	v_add_u32_e64 v14, v14, s25                                // 00000000254C: D134000E 0000330E
	v_add_u32_e32 v15, 0x100, v14                              // 000000002554: 681E1CFF 00000100
	ds_write_b32 v14, v12                                      // 00000000255C: D81A0000 00000C0E
	ds_write_b32 v15, v13                                      // 000000002564: D81A0000 00000D0F
	s_barrier                                                  // 00000000256C: BF8A0000
	v_lshrrev_b32_e32 v14, 4, v0                               // 000000002570: 201C0084
	v_and_b32_e64 v15, v14, 1                                  // 000000002574: D113000F 0001030E
	v_lshrrev_b32_e32 v16, 1, v14                              // 00000000257C: 20201C81
	v_lshlrev_b32_e32 v14, 1, v15                              // 000000002580: 241C1E81
	v_add_u32_e32 v14, v14, v16                                // 000000002584: 681C210E
	v_lshlrev_b32_e32 v14, 7, v14                              // 000000002588: 241C1C87
	v_and_b32_e64 v15, v0, 15                                  // 00000000258C: D113000F 00011F00
	v_lshlrev_b32_e32 v15, 2, v15                              // 000000002594: 241E1E82
	v_add_u32_e32 v14, v15, v14                                // 000000002598: 681C1D0F
	v_add_u32_e64 v14, v14, s25                                // 00000000259C: D134000E 0000330E
	v_add_u32_e32 v15, 64, v14                                 // 0000000025A4: 681E1CC0
	ds_read_b32 v12, v14                                       // 0000000025A8: D86C0000 0C00000E
	ds_read_b32 v13, v15                                       // 0000000025B0: D86C0000 0D00000F
	s_barrier                                                  // 0000000025B8: BF8A0000
	s_nop 1                                                    // 0000000025BC: BF800001
	s_mul_i32 s25, s11, 1                                      // 0000000025C0: 9219810B
	s_lshl_b32 s25, s25, 2                                     // 0000000025C4: 8E198219
	s_lshl_b32 s26, 0, 7                                       // 0000000025C8: 8E1A8780
	v_add_u32_e32 v7, s25, v6                                  // 0000000025CC: 680E0C19
	v_add_u32_e32 v7, s26, v7                                  // 0000000025D0: 680E0E1A
	s_mov_b64 exec, s[32:33]                                   // 0000000025D4: BEFE0120
	buffer_store_dword v12, v7, s[16:19], 0 offen              // 0000000025D8: E0701000 80040C07
	v_add_u32_e32 v7, s11, v7                                  // 0000000025E0: 680E0E0B
	buffer_store_dword v13, v7, s[16:19], 0 offen              // 0000000025E4: E0701000 80040D07
	s_mov_b64 exec, -1                                         // 0000000025EC: BEFE01C1
	s_mul_i32 s25, s8, 2                                       // 0000000025F0: 92198208
	s_lshl_b32 s25, s25, 2                                     // 0000000025F4: 8E198219
	v_add_u32_e32 v5, s25, v4                                  // 0000000025F8: 680A0819
	v_mov_b32_e32 v8, 0                                        // 0000000025FC: 7E100280
	v_mov_b32_e32 v9, 0                                        // 000000002600: 7E120280
	v_mov_b32_e32 v10, 0                                       // 000000002604: 7E140280
	v_mov_b32_e32 v11, 0                                       // 000000002608: 7E160280
	s_mov_b64 exec, s[30:31]                                   // 00000000260C: BEFE011E
	buffer_load_dwordx4 v[8:11], v5, s[12:15], 0 offen         // 000000002610: E05C1000 80030805
	s_mov_b64 exec, -1                                         // 000000002618: BEFE01C1
	v_add_u32_e32 v5, 0x100, v5                                // 00000000261C: 680A0AFF 00000100
	s_waitcnt vmcnt(0) expcnt(0) lgkmcnt(0)                    // 000000002624: BF8C0000
	s_barrier                                                  // 000000002628: BF8A0000
	v_cmp_u_f32_e64 s[36:37], v8, v8                           // 00000000262C: D0480024 00021108
	v_add3_u32 v17, v8, v20, 1                                 // 000000002634: D1FF0011 02062908
	v_cndmask_b32_e64 v14, v17, v19, s[36:37]                  // 00000000263C: D100000E 00922711
	v_cmp_u_f32_e64 s[36:37], v9, v9                           // 000000002644: D0480024 00021309
	v_add3_u32 v17, v9, v20, 1                                 // 00000000264C: D1FF0011 02062909
	v_cndmask_b32_e64 v15, v17, v19, s[36:37]                  // 000000002654: D100000F 00922711
	v_perm_b32 v12, v15, v14, s38                              // 00000000265C: D1ED000C 009A1D0F
	v_cmp_u_f32_e64 s[36:37], v10, v10                         // 000000002664: D0480024 0002150A
	v_add3_u32 v17, v10, v20, 1                                // 00000000266C: D1FF0011 0206290A
	v_cndmask_b32_e64 v14, v17, v19, s[36:37]                  // 000000002674: D100000E 00922711
	v_cmp_u_f32_e64 s[36:37], v11, v11                         // 00000000267C: D0480024 0002170B
	v_add3_u32 v17, v11, v20, 1                                // 000000002684: D1FF0011 0206290B
	v_cndmask_b32_e64 v15, v17, v19, s[36:37]                  // 00000000268C: D100000F 00922711
	v_perm_b32 v13, v15, v14, s38                              // 000000002694: D1ED000D 009A1D0F
	s_nop 1                                                    // 00000000269C: BF800001
	s_mul_i32 s25, s24, 0x100                                  // 0000000026A0: 9219FF18 00000100
	s_lshl_b32 s25, s25, 2                                     // 0000000026A8: 8E198219
	v_mov_b32_e32 v14, v0                                      // 0000000026AC: 7E1C0300
	v_lshlrev_b32_e32 v14, 2, v14                              // 0000000026B0: 241C1C82
	v_add_u32_e64 v14, v14, s25                                // 0000000026B4: D134000E 0000330E
	v_add_u32_e32 v15, 0x100, v14                              // 0000000026BC: 681E1CFF 00000100
	ds_write_b32 v14, v12                                      // 0000000026C4: D81A0000 00000C0E
	ds_write_b32 v15, v13                                      // 0000000026CC: D81A0000 00000D0F
	s_barrier                                                  // 0000000026D4: BF8A0000
	v_lshrrev_b32_e32 v14, 4, v0                               // 0000000026D8: 201C0084
	v_and_b32_e64 v15, v14, 1                                  // 0000000026DC: D113000F 0001030E
	v_lshrrev_b32_e32 v16, 1, v14                              // 0000000026E4: 20201C81
	v_lshlrev_b32_e32 v14, 1, v15                              // 0000000026E8: 241C1E81
	v_add_u32_e32 v14, v14, v16                                // 0000000026EC: 681C210E
	v_lshlrev_b32_e32 v14, 7, v14                              // 0000000026F0: 241C1C87
	v_and_b32_e64 v15, v0, 15                                  // 0000000026F4: D113000F 00011F00
	v_lshlrev_b32_e32 v15, 2, v15                              // 0000000026FC: 241E1E82
	v_add_u32_e32 v14, v15, v14                                // 000000002700: 681C1D0F
	v_add_u32_e64 v14, v14, s25                                // 000000002704: D134000E 0000330E
	v_add_u32_e32 v15, 64, v14                                 // 00000000270C: 681E1CC0
	ds_read_b32 v12, v14                                       // 000000002710: D86C0000 0C00000E
	ds_read_b32 v13, v15                                       // 000000002718: D86C0000 0D00000F
	s_barrier                                                  // 000000002720: BF8A0000
	s_nop 1                                                    // 000000002724: BF800001
	s_mul_i32 s25, s11, 2                                      // 000000002728: 9219820B
	s_lshl_b32 s25, s25, 2                                     // 00000000272C: 8E198219
	s_lshl_b32 s26, 0, 7                                       // 000000002730: 8E1A8780
	v_add_u32_e32 v7, s25, v6                                  // 000000002734: 680E0C19
	v_add_u32_e32 v7, s26, v7                                  // 000000002738: 680E0E1A
	s_mov_b64 exec, s[32:33]                                   // 00000000273C: BEFE0120
	buffer_store_dword v12, v7, s[16:19], 0 offen              // 000000002740: E0701000 80040C07
	v_add_u32_e32 v7, s11, v7                                  // 000000002748: 680E0E0B
	buffer_store_dword v13, v7, s[16:19], 0 offen              // 00000000274C: E0701000 80040D07
	s_mov_b64 exec, -1                                         // 000000002754: BEFE01C1
	s_mul_i32 s25, s8, 3                                       // 000000002758: 92198308
	s_lshl_b32 s25, s25, 2                                     // 00000000275C: 8E198219
	v_add_u32_e32 v5, s25, v4                                  // 000000002760: 680A0819
	v_mov_b32_e32 v8, 0                                        // 000000002764: 7E100280
	v_mov_b32_e32 v9, 0                                        // 000000002768: 7E120280
	v_mov_b32_e32 v10, 0                                       // 00000000276C: 7E140280
	v_mov_b32_e32 v11, 0                                       // 000000002770: 7E160280
	s_mov_b64 exec, s[30:31]                                   // 000000002774: BEFE011E
	buffer_load_dwordx4 v[8:11], v5, s[12:15], 0 offen         // 000000002778: E05C1000 80030805
	s_mov_b64 exec, -1                                         // 000000002780: BEFE01C1
	v_add_u32_e32 v5, 0x100, v5                                // 000000002784: 680A0AFF 00000100
	s_waitcnt vmcnt(0) expcnt(0) lgkmcnt(0)                    // 00000000278C: BF8C0000
	s_barrier                                                  // 000000002790: BF8A0000
	v_cmp_u_f32_e64 s[36:37], v8, v8                           // 000000002794: D0480024 00021108
	v_add3_u32 v17, v8, v20, 1                                 // 00000000279C: D1FF0011 02062908
	v_cndmask_b32_e64 v14, v17, v19, s[36:37]                  // 0000000027A4: D100000E 00922711
	v_cmp_u_f32_e64 s[36:37], v9, v9                           // 0000000027AC: D0480024 00021309
	v_add3_u32 v17, v9, v20, 1                                 // 0000000027B4: D1FF0011 02062909
	v_cndmask_b32_e64 v15, v17, v19, s[36:37]                  // 0000000027BC: D100000F 00922711
	v_perm_b32 v12, v15, v14, s38                              // 0000000027C4: D1ED000C 009A1D0F
	v_cmp_u_f32_e64 s[36:37], v10, v10                         // 0000000027CC: D0480024 0002150A
	v_add3_u32 v17, v10, v20, 1                                // 0000000027D4: D1FF0011 0206290A
	v_cndmask_b32_e64 v14, v17, v19, s[36:37]                  // 0000000027DC: D100000E 00922711
	v_cmp_u_f32_e64 s[36:37], v11, v11                         // 0000000027E4: D0480024 0002170B
	v_add3_u32 v17, v11, v20, 1                                // 0000000027EC: D1FF0011 0206290B
	v_cndmask_b32_e64 v15, v17, v19, s[36:37]                  // 0000000027F4: D100000F 00922711
	v_perm_b32 v13, v15, v14, s38                              // 0000000027FC: D1ED000D 009A1D0F
	s_nop 1                                                    // 000000002804: BF800001
	s_mul_i32 s25, s24, 0x100                                  // 000000002808: 9219FF18 00000100
	s_lshl_b32 s25, s25, 2                                     // 000000002810: 8E198219
	v_mov_b32_e32 v14, v0                                      // 000000002814: 7E1C0300
	v_lshlrev_b32_e32 v14, 2, v14                              // 000000002818: 241C1C82
	v_add_u32_e64 v14, v14, s25                                // 00000000281C: D134000E 0000330E
	v_add_u32_e32 v15, 0x100, v14                              // 000000002824: 681E1CFF 00000100
	ds_write_b32 v14, v12                                      // 00000000282C: D81A0000 00000C0E
	ds_write_b32 v15, v13                                      // 000000002834: D81A0000 00000D0F
	s_barrier                                                  // 00000000283C: BF8A0000
	v_lshrrev_b32_e32 v14, 4, v0                               // 000000002840: 201C0084
	v_and_b32_e64 v15, v14, 1                                  // 000000002844: D113000F 0001030E
	v_lshrrev_b32_e32 v16, 1, v14                              // 00000000284C: 20201C81
	v_lshlrev_b32_e32 v14, 1, v15                              // 000000002850: 241C1E81
	v_add_u32_e32 v14, v14, v16                                // 000000002854: 681C210E
	v_lshlrev_b32_e32 v14, 7, v14                              // 000000002858: 241C1C87
	v_and_b32_e64 v15, v0, 15                                  // 00000000285C: D113000F 00011F00
	v_lshlrev_b32_e32 v15, 2, v15                              // 000000002864: 241E1E82
	v_add_u32_e32 v14, v15, v14                                // 000000002868: 681C1D0F
	v_add_u32_e64 v14, v14, s25                                // 00000000286C: D134000E 0000330E
	v_add_u32_e32 v15, 64, v14                                 // 000000002874: 681E1CC0
	ds_read_b32 v12, v14                                       // 000000002878: D86C0000 0C00000E
	ds_read_b32 v13, v15                                       // 000000002880: D86C0000 0D00000F
	s_barrier                                                  // 000000002888: BF8A0000
	s_nop 1                                                    // 00000000288C: BF800001
	s_mul_i32 s25, s11, 3                                      // 000000002890: 9219830B
	s_lshl_b32 s25, s25, 2                                     // 000000002894: 8E198219
	s_lshl_b32 s26, 0, 7                                       // 000000002898: 8E1A8780
	v_add_u32_e32 v7, s25, v6                                  // 00000000289C: 680E0C19
	v_add_u32_e32 v7, s26, v7                                  // 0000000028A0: 680E0E1A
	s_mov_b64 exec, s[32:33]                                   // 0000000028A4: BEFE0120
	buffer_store_dword v12, v7, s[16:19], 0 offen              // 0000000028A8: E0701000 80040C07
	v_add_u32_e32 v7, s11, v7                                  // 0000000028B0: 680E0E0B
	buffer_store_dword v13, v7, s[16:19], 0 offen              // 0000000028B4: E0701000 80040D07
	s_mov_b64 exec, -1                                         // 0000000028BC: BEFE01C1
	s_waitcnt vmcnt(0) expcnt(0) lgkmcnt(0)                    // 0000000028C0: BF8C0000
	s_endpgm                                                   // 0000000028C4: BF810000
